;; amdgpu-corpus repo=ROCm/rocFFT kind=compiled arch=gfx1100 opt=O3
	.text
	.amdgcn_target "amdgcn-amd-amdhsa--gfx1100"
	.amdhsa_code_object_version 6
	.protected	fft_rtc_fwd_len135_factors_5_3_3_3_wgs_126_tpt_9_halfLds_dp_ip_CI_sbrr_dirReg ; -- Begin function fft_rtc_fwd_len135_factors_5_3_3_3_wgs_126_tpt_9_halfLds_dp_ip_CI_sbrr_dirReg
	.globl	fft_rtc_fwd_len135_factors_5_3_3_3_wgs_126_tpt_9_halfLds_dp_ip_CI_sbrr_dirReg
	.p2align	8
	.type	fft_rtc_fwd_len135_factors_5_3_3_3_wgs_126_tpt_9_halfLds_dp_ip_CI_sbrr_dirReg,@function
fft_rtc_fwd_len135_factors_5_3_3_3_wgs_126_tpt_9_halfLds_dp_ip_CI_sbrr_dirReg: ; @fft_rtc_fwd_len135_factors_5_3_3_3_wgs_126_tpt_9_halfLds_dp_ip_CI_sbrr_dirReg
; %bb.0:
	s_clause 0x1
	s_load_b64 s[12:13], s[0:1], 0x18
	s_load_b128 s[4:7], s[0:1], 0x0
	v_mul_u32_u24_e32 v1, 0x1c72, v0
	s_load_b64 s[10:11], s[0:1], 0x50
	s_waitcnt lgkmcnt(0)
	s_load_b64 s[8:9], s[12:13], 0x0
	s_delay_alu instid0(VALU_DEP_1) | instskip(SKIP_2) | instid1(VALU_DEP_3)
	v_lshrrev_b32_e32 v2, 16, v1
	v_mov_b32_e32 v1, 0
	v_cmp_lt_u64_e64 s2, s[6:7], 2
	v_mad_u64_u32 v[60:61], null, s15, 14, v[2:3]
	v_mov_b32_e32 v3, 0
	s_delay_alu instid0(VALU_DEP_4) | instskip(NEXT) | instid1(VALU_DEP_4)
	v_dual_mov_b32 v4, 0 :: v_dual_mov_b32 v61, v1
	s_and_b32 vcc_lo, exec_lo, s2
	s_delay_alu instid0(VALU_DEP_1)
	v_dual_mov_b32 v7, v60 :: v_dual_mov_b32 v8, v61
	s_cbranch_vccnz .LBB0_8
; %bb.1:
	s_load_b64 s[2:3], s[0:1], 0x10
	v_mov_b32_e32 v3, 0
	v_dual_mov_b32 v4, 0 :: v_dual_mov_b32 v5, v60
	s_add_u32 s14, s12, 8
	v_mov_b32_e32 v6, v61
	s_addc_u32 s15, s13, 0
	s_mov_b64 s[18:19], 1
	s_waitcnt lgkmcnt(0)
	s_add_u32 s16, s2, 8
	s_addc_u32 s17, s3, 0
.LBB0_2:                                ; =>This Inner Loop Header: Depth=1
	s_load_b64 s[20:21], s[16:17], 0x0
                                        ; implicit-def: $vgpr7_vgpr8
	s_mov_b32 s2, exec_lo
	s_waitcnt lgkmcnt(0)
	v_or_b32_e32 v2, s21, v6
	s_delay_alu instid0(VALU_DEP_1)
	v_cmpx_ne_u64_e32 0, v[1:2]
	s_xor_b32 s3, exec_lo, s2
	s_cbranch_execz .LBB0_4
; %bb.3:                                ;   in Loop: Header=BB0_2 Depth=1
	v_cvt_f32_u32_e32 v2, s20
	v_cvt_f32_u32_e32 v7, s21
	s_sub_u32 s2, 0, s20
	s_subb_u32 s22, 0, s21
	s_delay_alu instid0(VALU_DEP_1) | instskip(NEXT) | instid1(VALU_DEP_1)
	v_fmac_f32_e32 v2, 0x4f800000, v7
	v_rcp_f32_e32 v2, v2
	s_waitcnt_depctr 0xfff
	v_mul_f32_e32 v2, 0x5f7ffffc, v2
	s_delay_alu instid0(VALU_DEP_1) | instskip(NEXT) | instid1(VALU_DEP_1)
	v_mul_f32_e32 v7, 0x2f800000, v2
	v_trunc_f32_e32 v7, v7
	s_delay_alu instid0(VALU_DEP_1) | instskip(SKIP_1) | instid1(VALU_DEP_2)
	v_fmac_f32_e32 v2, 0xcf800000, v7
	v_cvt_u32_f32_e32 v7, v7
	v_cvt_u32_f32_e32 v2, v2
	s_delay_alu instid0(VALU_DEP_2) | instskip(NEXT) | instid1(VALU_DEP_2)
	v_mul_lo_u32 v8, s2, v7
	v_mul_hi_u32 v9, s2, v2
	v_mul_lo_u32 v10, s22, v2
	s_delay_alu instid0(VALU_DEP_2) | instskip(SKIP_1) | instid1(VALU_DEP_2)
	v_add_nc_u32_e32 v8, v9, v8
	v_mul_lo_u32 v9, s2, v2
	v_add_nc_u32_e32 v8, v8, v10
	s_delay_alu instid0(VALU_DEP_2) | instskip(NEXT) | instid1(VALU_DEP_2)
	v_mul_hi_u32 v10, v2, v9
	v_mul_lo_u32 v11, v2, v8
	v_mul_hi_u32 v12, v2, v8
	v_mul_hi_u32 v13, v7, v9
	v_mul_lo_u32 v9, v7, v9
	v_mul_hi_u32 v14, v7, v8
	v_mul_lo_u32 v8, v7, v8
	v_add_co_u32 v10, vcc_lo, v10, v11
	v_add_co_ci_u32_e32 v11, vcc_lo, 0, v12, vcc_lo
	s_delay_alu instid0(VALU_DEP_2) | instskip(NEXT) | instid1(VALU_DEP_2)
	v_add_co_u32 v9, vcc_lo, v10, v9
	v_add_co_ci_u32_e32 v9, vcc_lo, v11, v13, vcc_lo
	v_add_co_ci_u32_e32 v10, vcc_lo, 0, v14, vcc_lo
	s_delay_alu instid0(VALU_DEP_2) | instskip(NEXT) | instid1(VALU_DEP_2)
	v_add_co_u32 v8, vcc_lo, v9, v8
	v_add_co_ci_u32_e32 v9, vcc_lo, 0, v10, vcc_lo
	s_delay_alu instid0(VALU_DEP_2) | instskip(NEXT) | instid1(VALU_DEP_2)
	v_add_co_u32 v2, vcc_lo, v2, v8
	v_add_co_ci_u32_e32 v7, vcc_lo, v7, v9, vcc_lo
	s_delay_alu instid0(VALU_DEP_2) | instskip(SKIP_1) | instid1(VALU_DEP_3)
	v_mul_hi_u32 v8, s2, v2
	v_mul_lo_u32 v10, s22, v2
	v_mul_lo_u32 v9, s2, v7
	s_delay_alu instid0(VALU_DEP_1) | instskip(SKIP_1) | instid1(VALU_DEP_2)
	v_add_nc_u32_e32 v8, v8, v9
	v_mul_lo_u32 v9, s2, v2
	v_add_nc_u32_e32 v8, v8, v10
	s_delay_alu instid0(VALU_DEP_2) | instskip(NEXT) | instid1(VALU_DEP_2)
	v_mul_hi_u32 v10, v2, v9
	v_mul_lo_u32 v11, v2, v8
	v_mul_hi_u32 v12, v2, v8
	v_mul_hi_u32 v13, v7, v9
	v_mul_lo_u32 v9, v7, v9
	v_mul_hi_u32 v14, v7, v8
	v_mul_lo_u32 v8, v7, v8
	v_add_co_u32 v10, vcc_lo, v10, v11
	v_add_co_ci_u32_e32 v11, vcc_lo, 0, v12, vcc_lo
	s_delay_alu instid0(VALU_DEP_2) | instskip(NEXT) | instid1(VALU_DEP_2)
	v_add_co_u32 v9, vcc_lo, v10, v9
	v_add_co_ci_u32_e32 v9, vcc_lo, v11, v13, vcc_lo
	v_add_co_ci_u32_e32 v10, vcc_lo, 0, v14, vcc_lo
	s_delay_alu instid0(VALU_DEP_2) | instskip(NEXT) | instid1(VALU_DEP_2)
	v_add_co_u32 v8, vcc_lo, v9, v8
	v_add_co_ci_u32_e32 v9, vcc_lo, 0, v10, vcc_lo
	s_delay_alu instid0(VALU_DEP_2) | instskip(NEXT) | instid1(VALU_DEP_2)
	v_add_co_u32 v2, vcc_lo, v2, v8
	v_add_co_ci_u32_e32 v13, vcc_lo, v7, v9, vcc_lo
	s_delay_alu instid0(VALU_DEP_2) | instskip(SKIP_1) | instid1(VALU_DEP_3)
	v_mul_hi_u32 v14, v5, v2
	v_mad_u64_u32 v[9:10], null, v6, v2, 0
	v_mad_u64_u32 v[7:8], null, v5, v13, 0
	;; [unrolled: 1-line block ×3, first 2 shown]
	s_delay_alu instid0(VALU_DEP_2) | instskip(NEXT) | instid1(VALU_DEP_3)
	v_add_co_u32 v2, vcc_lo, v14, v7
	v_add_co_ci_u32_e32 v7, vcc_lo, 0, v8, vcc_lo
	s_delay_alu instid0(VALU_DEP_2) | instskip(NEXT) | instid1(VALU_DEP_2)
	v_add_co_u32 v2, vcc_lo, v2, v9
	v_add_co_ci_u32_e32 v2, vcc_lo, v7, v10, vcc_lo
	v_add_co_ci_u32_e32 v7, vcc_lo, 0, v12, vcc_lo
	s_delay_alu instid0(VALU_DEP_2) | instskip(NEXT) | instid1(VALU_DEP_2)
	v_add_co_u32 v2, vcc_lo, v2, v11
	v_add_co_ci_u32_e32 v9, vcc_lo, 0, v7, vcc_lo
	s_delay_alu instid0(VALU_DEP_2) | instskip(SKIP_1) | instid1(VALU_DEP_3)
	v_mul_lo_u32 v10, s21, v2
	v_mad_u64_u32 v[7:8], null, s20, v2, 0
	v_mul_lo_u32 v11, s20, v9
	s_delay_alu instid0(VALU_DEP_2) | instskip(NEXT) | instid1(VALU_DEP_2)
	v_sub_co_u32 v7, vcc_lo, v5, v7
	v_add3_u32 v8, v8, v11, v10
	s_delay_alu instid0(VALU_DEP_1) | instskip(NEXT) | instid1(VALU_DEP_1)
	v_sub_nc_u32_e32 v10, v6, v8
	v_subrev_co_ci_u32_e64 v10, s2, s21, v10, vcc_lo
	v_add_co_u32 v11, s2, v2, 2
	s_delay_alu instid0(VALU_DEP_1) | instskip(SKIP_3) | instid1(VALU_DEP_3)
	v_add_co_ci_u32_e64 v12, s2, 0, v9, s2
	v_sub_co_u32 v13, s2, v7, s20
	v_sub_co_ci_u32_e32 v8, vcc_lo, v6, v8, vcc_lo
	v_subrev_co_ci_u32_e64 v10, s2, 0, v10, s2
	v_cmp_le_u32_e32 vcc_lo, s20, v13
	s_delay_alu instid0(VALU_DEP_3) | instskip(SKIP_1) | instid1(VALU_DEP_4)
	v_cmp_eq_u32_e64 s2, s21, v8
	v_cndmask_b32_e64 v13, 0, -1, vcc_lo
	v_cmp_le_u32_e32 vcc_lo, s21, v10
	v_cndmask_b32_e64 v14, 0, -1, vcc_lo
	v_cmp_le_u32_e32 vcc_lo, s20, v7
	;; [unrolled: 2-line block ×3, first 2 shown]
	v_cndmask_b32_e64 v15, 0, -1, vcc_lo
	v_cmp_eq_u32_e32 vcc_lo, s21, v10
	s_delay_alu instid0(VALU_DEP_2) | instskip(SKIP_3) | instid1(VALU_DEP_3)
	v_cndmask_b32_e64 v7, v15, v7, s2
	v_cndmask_b32_e32 v10, v14, v13, vcc_lo
	v_add_co_u32 v13, vcc_lo, v2, 1
	v_add_co_ci_u32_e32 v14, vcc_lo, 0, v9, vcc_lo
	v_cmp_ne_u32_e32 vcc_lo, 0, v10
	s_delay_alu instid0(VALU_DEP_2) | instskip(NEXT) | instid1(VALU_DEP_4)
	v_cndmask_b32_e32 v8, v14, v12, vcc_lo
	v_cndmask_b32_e32 v10, v13, v11, vcc_lo
	v_cmp_ne_u32_e32 vcc_lo, 0, v7
	s_delay_alu instid0(VALU_DEP_2)
	v_dual_cndmask_b32 v7, v2, v10 :: v_dual_cndmask_b32 v8, v9, v8
.LBB0_4:                                ;   in Loop: Header=BB0_2 Depth=1
	s_and_not1_saveexec_b32 s2, s3
	s_cbranch_execz .LBB0_6
; %bb.5:                                ;   in Loop: Header=BB0_2 Depth=1
	v_cvt_f32_u32_e32 v2, s20
	s_sub_i32 s3, 0, s20
	s_delay_alu instid0(VALU_DEP_1) | instskip(SKIP_2) | instid1(VALU_DEP_1)
	v_rcp_iflag_f32_e32 v2, v2
	s_waitcnt_depctr 0xfff
	v_mul_f32_e32 v2, 0x4f7ffffe, v2
	v_cvt_u32_f32_e32 v2, v2
	s_delay_alu instid0(VALU_DEP_1) | instskip(NEXT) | instid1(VALU_DEP_1)
	v_mul_lo_u32 v7, s3, v2
	v_mul_hi_u32 v7, v2, v7
	s_delay_alu instid0(VALU_DEP_1) | instskip(NEXT) | instid1(VALU_DEP_1)
	v_add_nc_u32_e32 v2, v2, v7
	v_mul_hi_u32 v2, v5, v2
	s_delay_alu instid0(VALU_DEP_1) | instskip(SKIP_1) | instid1(VALU_DEP_2)
	v_mul_lo_u32 v7, v2, s20
	v_add_nc_u32_e32 v8, 1, v2
	v_sub_nc_u32_e32 v7, v5, v7
	s_delay_alu instid0(VALU_DEP_1) | instskip(SKIP_1) | instid1(VALU_DEP_2)
	v_subrev_nc_u32_e32 v9, s20, v7
	v_cmp_le_u32_e32 vcc_lo, s20, v7
	v_dual_cndmask_b32 v7, v7, v9 :: v_dual_cndmask_b32 v2, v2, v8
	s_delay_alu instid0(VALU_DEP_1) | instskip(NEXT) | instid1(VALU_DEP_2)
	v_cmp_le_u32_e32 vcc_lo, s20, v7
	v_add_nc_u32_e32 v8, 1, v2
	s_delay_alu instid0(VALU_DEP_1)
	v_dual_cndmask_b32 v7, v2, v8 :: v_dual_mov_b32 v8, v1
.LBB0_6:                                ;   in Loop: Header=BB0_2 Depth=1
	s_or_b32 exec_lo, exec_lo, s2
	s_load_b64 s[2:3], s[14:15], 0x0
	s_delay_alu instid0(VALU_DEP_1) | instskip(NEXT) | instid1(VALU_DEP_2)
	v_mul_lo_u32 v2, v8, s20
	v_mul_lo_u32 v11, v7, s21
	v_mad_u64_u32 v[9:10], null, v7, s20, 0
	s_add_u32 s18, s18, 1
	s_addc_u32 s19, s19, 0
	s_add_u32 s14, s14, 8
	s_addc_u32 s15, s15, 0
	;; [unrolled: 2-line block ×3, first 2 shown]
	s_delay_alu instid0(VALU_DEP_1) | instskip(SKIP_1) | instid1(VALU_DEP_2)
	v_add3_u32 v2, v10, v11, v2
	v_sub_co_u32 v9, vcc_lo, v5, v9
	v_sub_co_ci_u32_e32 v2, vcc_lo, v6, v2, vcc_lo
	s_waitcnt lgkmcnt(0)
	s_delay_alu instid0(VALU_DEP_2) | instskip(NEXT) | instid1(VALU_DEP_2)
	v_mul_lo_u32 v10, s3, v9
	v_mul_lo_u32 v2, s2, v2
	v_mad_u64_u32 v[5:6], null, s2, v9, v[3:4]
	v_cmp_ge_u64_e64 s2, s[18:19], s[6:7]
	s_delay_alu instid0(VALU_DEP_1) | instskip(NEXT) | instid1(VALU_DEP_2)
	s_and_b32 vcc_lo, exec_lo, s2
	v_add3_u32 v4, v10, v6, v2
	s_delay_alu instid0(VALU_DEP_3)
	v_mov_b32_e32 v3, v5
	s_cbranch_vccnz .LBB0_8
; %bb.7:                                ;   in Loop: Header=BB0_2 Depth=1
	v_dual_mov_b32 v5, v7 :: v_dual_mov_b32 v6, v8
	s_branch .LBB0_2
.LBB0_8:
	s_lshl_b64 s[2:3], s[6:7], 3
	v_mul_hi_u32 v1, 0x1c71c71d, v0
	s_add_u32 s2, s12, s2
	s_addc_u32 s3, s13, s3
	s_load_b64 s[0:1], s[0:1], 0x20
	s_load_b64 s[2:3], s[2:3], 0x0
                                        ; implicit-def: $vgpr99
                                        ; implicit-def: $vgpr100
                                        ; implicit-def: $vgpr101
                                        ; implicit-def: $vgpr102
	s_delay_alu instid0(VALU_DEP_1) | instskip(NEXT) | instid1(VALU_DEP_1)
	v_mul_u32_u24_e32 v1, 9, v1
	v_sub_nc_u32_e32 v93, v0, v1
	s_delay_alu instid0(VALU_DEP_1)
	v_add_nc_u32_e32 v94, 9, v93
	v_add_nc_u32_e32 v90, 18, v93
	;; [unrolled: 1-line block ×4, first 2 shown]
	s_waitcnt lgkmcnt(0)
	v_cmp_gt_u64_e32 vcc_lo, s[0:1], v[7:8]
	v_mul_lo_u32 v2, s2, v8
	v_mul_lo_u32 v5, s3, v7
	v_mad_u64_u32 v[0:1], null, s2, v7, v[3:4]
	v_cmp_le_u64_e64 s0, s[0:1], v[7:8]
	s_delay_alu instid0(VALU_DEP_2) | instskip(NEXT) | instid1(VALU_DEP_2)
	v_add3_u32 v1, v5, v1, v2
	s_and_saveexec_b32 s1, s0
	s_delay_alu instid0(SALU_CYCLE_1)
	s_xor_b32 s0, exec_lo, s1
; %bb.9:
	v_add_nc_u32_e32 v99, 9, v93
	v_add_nc_u32_e32 v100, 18, v93
	;; [unrolled: 1-line block ×4, first 2 shown]
; %bb.10:
	s_or_saveexec_b32 s1, s0
	v_lshlrev_b64 v[64:65], 4, v[0:1]
	v_add_nc_u32_e32 v96, 54, v93
	v_add_nc_u32_e32 v97, 0x5a, v93
	v_add_nc_u32_e32 v98, 45, v93
	v_add_nc_u32_e32 v95, 0x63, v93
                                        ; implicit-def: $vgpr26_vgpr27
                                        ; implicit-def: $vgpr42_vgpr43
                                        ; implicit-def: $vgpr50_vgpr51
                                        ; implicit-def: $vgpr58_vgpr59
                                        ; implicit-def: $vgpr54_vgpr55
                                        ; implicit-def: $vgpr22_vgpr23
                                        ; implicit-def: $vgpr34_vgpr35
                                        ; implicit-def: $vgpr38_vgpr39
                                        ; implicit-def: $vgpr46_vgpr47
                                        ; implicit-def: $vgpr30_vgpr31
                                        ; implicit-def: $vgpr6_vgpr7
                                        ; implicit-def: $vgpr2_vgpr3
                                        ; implicit-def: $vgpr18_vgpr19
                                        ; implicit-def: $vgpr14_vgpr15
                                        ; implicit-def: $vgpr10_vgpr11
	s_xor_b32 exec_lo, exec_lo, s1
	s_cbranch_execz .LBB0_12
; %bb.11:
	v_mad_u64_u32 v[0:1], null, s8, v93, 0
	v_mad_u64_u32 v[2:3], null, s8, v91, 0
	v_add_nc_u32_e32 v21, 0x6c, v93
	v_add_nc_u32_e32 v27, 63, v93
	v_add_co_u32 v53, s0, s10, v64
	s_delay_alu instid0(VALU_DEP_1)
	v_add_co_ci_u32_e64 v54, s0, s11, v65, s0
	v_mad_u64_u32 v[4:5], null, s9, v93, v[1:2]
	v_mov_b32_e32 v1, v3
	v_mad_u64_u32 v[5:6], null, s8, v96, 0
	v_add_nc_u32_e32 v9, 0x51, v93
	v_mad_u64_u32 v[18:19], null, s8, v21, 0
	s_delay_alu instid0(VALU_DEP_4) | instskip(NEXT) | instid1(VALU_DEP_4)
	v_mad_u64_u32 v[7:8], null, s9, v91, v[1:2]
	v_dual_mov_b32 v1, v4 :: v_dual_mov_b32 v4, v6
	s_delay_alu instid0(VALU_DEP_4) | instskip(SKIP_1) | instid1(VALU_DEP_4)
	v_mad_u64_u32 v[16:17], null, s8, v9, 0
	v_mad_u64_u32 v[24:25], null, s8, v27, 0
	v_mov_b32_e32 v3, v7
	s_delay_alu instid0(VALU_DEP_4) | instskip(SKIP_2) | instid1(VALU_DEP_4)
	v_lshlrev_b64 v[0:1], 4, v[0:1]
	v_mad_u64_u32 v[6:7], null, s9, v96, v[4:5]
	v_mov_b32_e32 v4, v17
	v_lshlrev_b64 v[2:3], 4, v[2:3]
	v_mad_u64_u32 v[40:41], null, s8, v90, 0
	v_add_co_u32 v0, s0, v53, v0
	s_delay_alu instid0(VALU_DEP_4) | instskip(SKIP_2) | instid1(VALU_DEP_1)
	v_mad_u64_u32 v[7:8], null, s9, v9, v[4:5]
	v_add_co_ci_u32_e64 v1, s0, v54, v1, s0
	v_add_co_u32 v2, s0, v53, v2
	v_add_co_ci_u32_e64 v3, s0, v54, v3, s0
	s_clause 0x1
	global_load_b128 v[8:11], v[0:1], off
	global_load_b128 v[12:15], v[2:3], off
	v_lshlrev_b64 v[0:1], 4, v[5:6]
	v_dual_mov_b32 v17, v7 :: v_dual_add_nc_u32 v30, 0x75, v93
	v_mad_u64_u32 v[4:5], null, s8, v94, 0
	v_mad_u64_u32 v[6:7], null, s8, v92, 0
	v_mov_b32_e32 v2, v19
	s_delay_alu instid0(VALU_DEP_4) | instskip(SKIP_1) | instid1(VALU_DEP_1)
	v_lshlrev_b64 v[16:17], 4, v[16:17]
	v_add_co_u32 v0, s0, v53, v0
	v_add_co_ci_u32_e64 v1, s0, v54, v1, s0
	s_delay_alu instid0(VALU_DEP_4) | instskip(SKIP_4) | instid1(VALU_DEP_4)
	v_mad_u64_u32 v[19:20], null, s9, v21, v[2:3]
	v_dual_mov_b32 v2, v5 :: v_dual_mov_b32 v3, v7
	v_add_nc_u32_e32 v55, 0x7e, v93
	v_mad_u64_u32 v[48:49], null, s8, v95, 0
	v_mov_b32_e32 v101, v91
	v_mad_u64_u32 v[20:21], null, s9, v94, v[2:3]
	v_mad_u64_u32 v[21:22], null, s9, v92, v[3:4]
	v_lshlrev_b64 v[22:23], 4, v[18:19]
	v_add_co_u32 v2, s0, v53, v16
	s_delay_alu instid0(VALU_DEP_1) | instskip(SKIP_1) | instid1(VALU_DEP_4)
	v_add_co_ci_u32_e64 v3, s0, v54, v17, s0
	v_mov_b32_e32 v5, v20
	v_add_co_u32 v20, s0, v53, v22
	v_mov_b32_e32 v22, v25
	v_mov_b32_e32 v7, v21
	s_delay_alu instid0(VALU_DEP_4) | instskip(SKIP_1) | instid1(VALU_DEP_4)
	v_lshlrev_b64 v[4:5], 4, v[4:5]
	v_add_co_ci_u32_e64 v21, s0, v54, v23, s0
	v_mad_u64_u32 v[25:26], null, s9, v27, v[22:23]
	s_delay_alu instid0(VALU_DEP_4) | instskip(SKIP_3) | instid1(VALU_DEP_1)
	v_lshlrev_b64 v[6:7], 4, v[6:7]
	v_mad_u64_u32 v[22:23], null, s8, v97, 0
	v_mad_u64_u32 v[26:27], null, s8, v30, 0
	v_add_co_u32 v28, s0, v53, v4
	v_add_co_ci_u32_e64 v29, s0, v54, v5, s0
	v_add_co_u32 v32, s0, v53, v6
	v_mov_b32_e32 v4, v23
	v_add_co_ci_u32_e64 v33, s0, v54, v7, s0
	v_dual_mov_b32 v5, v27 :: v_dual_mov_b32 v102, v92
	v_lshlrev_b64 v[6:7], 4, v[24:25]
	s_clause 0x1
	global_load_b128 v[16:19], v[0:1], off
	global_load_b128 v[0:3], v[2:3], off
	v_mov_b32_e32 v100, v90
	v_mad_u64_u32 v[23:24], null, s9, v97, v[4:5]
	v_mov_b32_e32 v99, v94
	v_mad_u64_u32 v[24:25], null, s9, v30, v[5:6]
	v_add_co_u32 v34, s0, v53, v6
	s_delay_alu instid0(VALU_DEP_1)
	v_add_co_ci_u32_e64 v35, s0, v54, v7, s0
	s_clause 0x1
	global_load_b128 v[4:7], v[20:21], off
	global_load_b128 v[28:31], v[28:29], off
	v_lshlrev_b64 v[21:22], 4, v[22:23]
	v_dual_mov_b32 v27, v24 :: v_dual_mov_b32 v20, v41
	s_clause 0x1
	global_load_b128 v[44:47], v[32:33], off
	global_load_b128 v[36:39], v[34:35], off
	v_add_nc_u32_e32 v32, 0x48, v93
	v_lshlrev_b64 v[23:24], 4, v[26:27]
	v_mad_u64_u32 v[25:26], null, s9, v90, v[20:21]
	v_mad_u64_u32 v[26:27], null, s8, v98, 0
	s_delay_alu instid0(VALU_DEP_4) | instskip(SKIP_1) | instid1(VALU_DEP_1)
	v_mad_u64_u32 v[42:43], null, s8, v32, 0
	v_add_co_u32 v20, s0, v53, v21
	v_add_co_ci_u32_e64 v21, s0, v54, v22, s0
	v_add_co_u32 v22, s0, v53, v23
	s_delay_alu instid0(VALU_DEP_1) | instskip(SKIP_2) | instid1(VALU_DEP_2)
	v_add_co_ci_u32_e64 v23, s0, v54, v24, s0
	v_dual_mov_b32 v41, v25 :: v_dual_mov_b32 v24, v27
	v_mov_b32_e32 v25, v43
	v_lshlrev_b64 v[40:41], 4, v[40:41]
	s_delay_alu instid0(VALU_DEP_2) | instskip(SKIP_2) | instid1(VALU_DEP_4)
	v_mad_u64_u32 v[50:51], null, s9, v98, v[24:25]
	v_mad_u64_u32 v[51:52], null, s9, v32, v[25:26]
	;; [unrolled: 1-line block ×3, first 2 shown]
	v_add_co_u32 v40, s0, v53, v40
	s_delay_alu instid0(VALU_DEP_4) | instskip(SKIP_3) | instid1(VALU_DEP_4)
	v_mov_b32_e32 v27, v50
	v_add_co_ci_u32_e64 v41, s0, v54, v41, s0
	v_mov_b32_e32 v43, v51
	v_mad_u64_u32 v[50:51], null, s9, v95, v[49:50]
	v_lshlrev_b64 v[26:27], 4, v[26:27]
	s_clause 0x1
	global_load_b128 v[32:35], v[20:21], off
	global_load_b128 v[20:23], v[22:23], off
	v_lshlrev_b64 v[42:43], 4, v[42:43]
	v_mad_u64_u32 v[51:52], null, s9, v55, v[25:26]
	v_mov_b32_e32 v49, v50
	v_add_co_u32 v26, s0, v53, v26
	s_delay_alu instid0(VALU_DEP_1) | instskip(NEXT) | instid1(VALU_DEP_3)
	v_add_co_ci_u32_e64 v27, s0, v54, v27, s0
	v_lshlrev_b64 v[48:49], 4, v[48:49]
	v_mov_b32_e32 v25, v51
	v_add_co_u32 v42, s0, v53, v42
	s_delay_alu instid0(VALU_DEP_1) | instskip(NEXT) | instid1(VALU_DEP_3)
	v_add_co_ci_u32_e64 v43, s0, v54, v43, s0
	v_lshlrev_b64 v[24:25], 4, v[24:25]
	v_add_co_u32 v61, s0, v53, v48
	s_delay_alu instid0(VALU_DEP_1) | instskip(NEXT) | instid1(VALU_DEP_3)
	v_add_co_ci_u32_e64 v62, s0, v54, v49, s0
	v_add_co_u32 v24, s0, v53, v24
	s_delay_alu instid0(VALU_DEP_1)
	v_add_co_ci_u32_e64 v25, s0, v54, v25, s0
	s_clause 0x4
	global_load_b128 v[52:55], v[40:41], off
	global_load_b128 v[56:59], v[26:27], off
	;; [unrolled: 1-line block ×5, first 2 shown]
.LBB0_12:
	s_or_b32 exec_lo, exec_lo, s1
	s_waitcnt vmcnt(11)
	v_add_f64 v[61:62], v[0:1], v[16:17]
	s_waitcnt vmcnt(10)
	v_add_f64 v[66:67], v[4:5], v[12:13]
	;; [unrolled: 2-line block ×5, first 2 shown]
	v_add_f64 v[74:75], v[40:41], v[48:49]
	v_add_f64 v[80:81], v[44:45], v[28:29]
	;; [unrolled: 1-line block ×6, first 2 shown]
	v_add_f64 v[113:114], v[14:15], -v[18:19]
	v_add_f64 v[115:116], v[18:19], -v[14:15]
	;; [unrolled: 1-line block ×3, first 2 shown]
	v_add_f64 v[76:77], v[12:13], v[8:9]
	v_add_f64 v[88:89], v[34:35], v[38:39]
	;; [unrolled: 1-line block ×3, first 2 shown]
	v_add_f64 v[121:122], v[38:39], -v[34:35]
	v_add_f64 v[135:136], v[56:57], v[52:53]
	v_add_f64 v[137:138], v[58:59], v[54:55]
	v_add_f64 v[139:140], v[58:59], -v[26:27]
	v_add_f64 v[129:130], v[46:47], -v[38:39]
	v_add_f64 v[131:132], v[38:39], -v[46:47]
	v_add_f64 v[46:47], v[46:47], -v[22:23]
	v_add_f64 v[133:134], v[26:27], v[58:59]
	v_add_f64 v[105:106], v[18:19], -v[2:3]
	s_mov_b32 s0, 0x134454ff
	s_mov_b32 s1, 0x3fee6f0e
	;; [unrolled: 1-line block ×4, first 2 shown]
	v_add_f64 v[107:108], v[12:13], -v[16:17]
	v_add_f64 v[109:110], v[16:17], -v[12:13]
	v_add_f64 v[117:118], v[4:5], -v[0:1]
	v_add_f64 v[123:124], v[44:45], -v[36:37]
	v_add_f64 v[125:126], v[36:37], -v[44:45]
	v_add_f64 v[127:128], v[36:37], -v[32:33]
	v_add_f64 v[12:13], v[12:13], -v[4:5]
	v_add_f64 v[111:112], v[16:17], -v[0:1]
	v_fma_f64 v[61:62], v[61:62], -0.5, v[8:9]
	v_fma_f64 v[8:9], v[66:67], -0.5, v[8:9]
	v_add_f64 v[66:67], v[42:43], v[50:51]
	v_fma_f64 v[68:69], v[68:69], -0.5, v[28:29]
	v_fma_f64 v[28:29], v[70:71], -0.5, v[28:29]
	v_add_f64 v[70:71], v[50:51], -v[42:43]
	v_fma_f64 v[72:73], v[72:73], -0.5, v[52:53]
	v_fma_f64 v[52:53], v[74:75], -0.5, v[52:53]
	v_add_f64 v[36:37], v[36:37], v[80:81]
	v_add_f64 v[38:39], v[38:39], v[82:83]
	v_add_f64 v[80:81], v[48:49], -v[56:57]
	v_add_f64 v[82:83], v[40:41], -v[24:25]
	v_fma_f64 v[84:85], v[84:85], -0.5, v[10:11]
	v_add_f64 v[119:120], v[0:1], -v[4:5]
	v_fma_f64 v[10:11], v[86:87], -0.5, v[10:11]
	v_add_f64 v[16:17], v[16:17], v[76:77]
	v_add_f64 v[18:19], v[18:19], v[78:79]
	v_add_f64 v[76:77], v[56:57], -v[48:49]
	v_add_f64 v[78:79], v[24:25], -v[40:41]
	;; [unrolled: 1-line block ×5, first 2 shown]
	v_fma_f64 v[88:89], v[88:89], -0.5, v[30:31]
	v_fma_f64 v[30:31], v[103:104], -0.5, v[30:31]
	v_add_f64 v[103:104], v[48:49], -v[40:41]
	v_add_f64 v[48:49], v[48:49], v[135:136]
	v_add_f64 v[50:51], v[50:51], v[137:138]
	v_add_f64 v[74:75], v[20:21], -v[32:33]
	v_add_f64 v[44:45], v[44:45], -v[20:21]
	;; [unrolled: 1-line block ×3, first 2 shown]
	s_mov_b32 s6, 0x4755a5e
	s_mov_b32 s7, 0x3fe2cf23
	;; [unrolled: 1-line block ×4, first 2 shown]
	v_add_f64 v[107:108], v[117:118], v[107:108]
	v_add_f64 v[117:118], v[6:7], -v[2:3]
	v_lshrrev_b32_e32 v63, 1, v60
	v_fma_f64 v[143:144], v[14:15], s[0:1], v[61:62]
	v_fma_f64 v[61:62], v[14:15], s[2:3], v[61:62]
	v_fma_f64 v[66:67], v[66:67], -0.5, v[54:55]
	v_fma_f64 v[54:55], v[133:134], -0.5, v[54:55]
	v_fma_f64 v[135:136], v[121:122], s[2:3], v[28:29]
	v_fma_f64 v[28:29], v[121:122], s[0:1], v[28:29]
	;; [unrolled: 1-line block ×10, first 2 shown]
	v_add_f64 v[80:81], v[82:83], v[80:81]
	v_fma_f64 v[82:83], v[12:13], s[2:3], v[84:85]
	v_add_f64 v[109:110], v[119:120], v[109:110]
	v_add_f64 v[119:120], v[2:3], -v[6:7]
	v_fma_f64 v[84:85], v[12:13], s[0:1], v[84:85]
	v_add_f64 v[76:77], v[78:79], v[76:77]
	v_add_f64 v[78:79], v[26:27], -v[42:43]
	v_add_f64 v[0:1], v[0:1], v[16:17]
	v_add_f64 v[16:17], v[32:33], v[36:37]
	;; [unrolled: 1-line block ×5, first 2 shown]
	v_mul_hi_u32 v63, 0x92492493, v63
	v_add_f64 v[74:75], v[74:75], v[123:124]
	v_add_f64 v[123:124], v[22:23], -v[34:35]
	v_add_f64 v[125:126], v[141:142], v[125:126]
	v_add_f64 v[141:142], v[34:35], -v[22:23]
	v_add_f64 v[34:35], v[42:43], v[50:51]
	v_lshrrev_b32_e32 v63, 2, v63
	v_add_f64 v[36:37], v[117:118], v[113:114]
	v_fma_f64 v[143:144], v[105:106], s[6:7], v[143:144]
	v_fma_f64 v[61:62], v[105:106], s[12:13], v[61:62]
	;; [unrolled: 1-line block ×20, first 2 shown]
	v_add_f64 v[139:140], v[42:43], -v[26:27]
	v_fma_f64 v[147:148], v[103:104], s[0:1], v[54:55]
	v_fma_f64 v[54:55], v[103:104], s[2:3], v[54:55]
	;; [unrolled: 1-line block ×3, first 2 shown]
	v_add_f64 v[40:41], v[119:120], v[115:116]
	v_fma_f64 v[42:43], v[111:112], s[6:7], v[84:85]
	v_add_f64 v[78:79], v[78:79], v[86:87]
	v_mul_lo_u32 v63, v63, 14
	s_mov_b32 s0, 0x372fe950
	s_mov_b32 s1, 0x3fd3c6ef
	v_add_f64 v[0:1], v[4:5], v[0:1]
	v_add_f64 v[48:49], v[123:124], v[129:130]
	;; [unrolled: 1-line block ×5, first 2 shown]
	v_sub_nc_u32_e32 v149, v60, v63
	v_add_f64 v[2:3], v[6:7], v[2:3]
	v_add_f64 v[6:7], v[22:23], v[18:19]
	;; [unrolled: 1-line block ×3, first 2 shown]
	v_fma_f64 v[60:61], v[107:108], s[0:1], v[61:62]
	v_fma_f64 v[50:51], v[12:13], s[12:13], v[105:106]
	;; [unrolled: 1-line block ×3, first 2 shown]
	v_and_b32_e32 v120, 0xff, v102
	v_fma_f64 v[28:29], v[125:126], s[0:1], v[28:29]
	v_fma_f64 v[20:21], v[80:81], s[0:1], v[46:47]
	v_fma_f64 v[32:33], v[76:77], s[0:1], v[137:138]
	v_fma_f64 v[52:53], v[76:77], s[0:1], v[52:53]
	v_fma_f64 v[70:71], v[103:104], s[12:13], v[70:71]
	v_fma_f64 v[66:67], v[103:104], s[6:7], v[66:67]
	v_fma_f64 v[84:85], v[74:75], s[0:1], v[133:134]
	v_fma_f64 v[4:5], v[74:75], s[0:1], v[68:69]
	v_fma_f64 v[82:83], v[44:45], s[12:13], v[121:122]
	v_fma_f64 v[30:31], v[44:45], s[6:7], v[30:31]
	v_fma_f64 v[44:45], v[107:108], s[0:1], v[143:144]
	v_fma_f64 v[62:63], v[109:110], s[0:1], v[145:146]
	v_fma_f64 v[8:9], v[109:110], s[0:1], v[8:9]
	v_fma_f64 v[12:13], v[127:128], s[12:13], v[14:15]
	v_fma_f64 v[14:15], v[127:128], s[6:7], v[88:89]
	v_add_f64 v[58:59], v[139:140], v[58:59]
	v_fma_f64 v[86:87], v[56:57], s[12:13], v[147:148]
	v_fma_f64 v[54:55], v[56:57], s[6:7], v[54:55]
	;; [unrolled: 1-line block ×5, first 2 shown]
	v_mul_u32_u24_e32 v68, 0x87, v149
	v_fma_f64 v[26:27], v[36:37], s[0:1], v[42:43]
	s_mov_b32 s2, 0xe8584caa
	s_mov_b32 s3, 0x3febb67a
	s_mov_b32 s7, 0xbfebb67a
	v_lshlrev_b32_e32 v110, 3, v68
	s_mov_b32 s6, s2
	v_fma_f64 v[34:35], v[40:41], s[0:1], v[50:51]
	v_fma_f64 v[10:11], v[40:41], s[0:1], v[10:11]
	;; [unrolled: 1-line block ×4, first 2 shown]
	v_mov_b32_e32 v67, 0
	v_add_nc_u32_e32 v109, 0, v110
	v_fma_f64 v[36:37], v[113:114], s[0:1], v[82:83]
	v_fma_f64 v[30:31], v[113:114], s[0:1], v[30:31]
	s_delay_alu instid0(VALU_DEP_3)
	v_mad_u32_u24 v80, v93, 40, v109
	ds_store_2addr_b64 v80, v[0:1], v[44:45] offset1:1
	ds_store_2addr_b64 v80, v[62:63], v[8:9] offset0:2 offset1:3
	ds_store_b64 v80, v[60:61] offset:32
	v_lshlrev_b32_e32 v0, 3, v93
	v_mad_i32_i24 v8, v100, 40, v109
	v_mad_i32_i24 v81, v99, 40, v109
	v_lshlrev_b32_e32 v1, 5, v99
	v_fma_f64 v[12:13], v[48:49], s[0:1], v[12:13]
	v_add3_u32 v104, 0, v0, v110
	v_add_nc_u32_e32 v103, v109, v0
	v_lshlrev_b32_e32 v0, 5, v100
	v_fma_f64 v[14:15], v[48:49], s[0:1], v[14:15]
	v_fma_f64 v[42:43], v[58:59], s[0:1], v[86:87]
	;; [unrolled: 1-line block ×3, first 2 shown]
	v_cmp_gt_u32_e64 s0, 5, v93
	v_sub_nc_u32_e32 v106, v8, v0
	v_add_nc_u32_e32 v0, -5, v93
	v_sub_nc_u32_e32 v105, v81, v1
	v_lshl_add_u32 v108, v102, 3, v109
	v_lshl_add_u32 v107, v101, 3, v109
	ds_store_2addr_b64 v81, v[16:17], v[84:85] offset1:1
	ds_store_2addr_b64 v81, v[56:57], v[28:29] offset0:2 offset1:3
	ds_store_b64 v81, v[4:5] offset:32
	v_cndmask_b32_e64 v111, v0, v93, s0
	ds_store_2addr_b64 v8, v[24:25], v[32:33] offset1:1
	ds_store_2addr_b64 v8, v[20:21], v[46:47] offset0:2 offset1:3
	ds_store_b64 v8, v[52:53] offset:32
	s_waitcnt lgkmcnt(0)
	s_barrier
	buffer_gl0_inv
	ds_load_2addr_b64 v[86:89], v104 offset0:45 offset1:54
	ds_load_2addr_b64 v[60:63], v104 offset0:81 offset1:90
	ds_load_2addr_b64 v[121:124], v104 offset0:99 offset1:108
	ds_load_2addr_b64 v[125:128], v104 offset0:63 offset1:72
	ds_load_b64 v[74:75], v103
	ds_load_b64 v[72:73], v105
	;; [unrolled: 1-line block ×4, first 2 shown]
	ds_load_2addr_b64 v[129:132], v104 offset0:117 offset1:126
	ds_load_b64 v[76:77], v108
	s_waitcnt lgkmcnt(0)
	s_barrier
	buffer_gl0_inv
	ds_store_2addr_b64 v80, v[2:3], v[22:23] offset1:1
	ds_store_2addr_b64 v80, v[34:35], v[10:11] offset0:2 offset1:3
	ds_store_b64 v80, v[26:27] offset:32
	v_and_b32_e32 v2, 0xff, v99
	v_lshlrev_b32_e32 v66, 1, v111
	v_and_b32_e32 v3, 0xff, v100
	ds_store_2addr_b64 v81, v[6:7], v[12:13] offset1:1
	ds_store_2addr_b64 v81, v[36:37], v[30:31] offset0:2 offset1:3
	ds_store_b64 v81, v[14:15] offset:32
	v_mul_lo_u16 v2, 0xcd, v2
	v_lshlrev_b64 v[0:1], 4, v[66:67]
	v_and_b32_e32 v66, 0xff, v101
	ds_store_2addr_b64 v8, v[18:19], v[38:39] offset1:1
	ds_store_2addr_b64 v8, v[42:43], v[48:49] offset0:2 offset1:3
	ds_store_b64 v8, v[40:41] offset:32
	s_waitcnt lgkmcnt(0)
	v_lshrrev_b16 v112, 10, v2
	v_mul_lo_u16 v2, 0xcd, v3
	v_add_co_u32 v24, s0, s4, v0
	v_mul_lo_u16 v0, 0xcd, v66
	v_add_co_ci_u32_e64 v25, s0, s5, v1, s0
	s_delay_alu instid0(VALU_DEP_4)
	v_lshrrev_b16 v117, 10, v2
	v_mul_lo_u16 v1, v112, 5
	v_mul_lo_u16 v2, 0xcd, v120
	v_lshrrev_b16 v118, 10, v0
	s_barrier
	v_mul_lo_u16 v0, v117, 5
	v_sub_nc_u16 v1, v99, v1
	v_lshrrev_b16 v119, 10, v2
	v_mul_lo_u16 v2, v118, 5
	buffer_gl0_inv
	v_sub_nc_u16 v0, v100, v0
	v_and_b32_e32 v114, 0xff, v1
	v_mul_lo_u16 v1, v119, 5
	v_sub_nc_u16 v4, v101, v2
	v_cmp_lt_u32_e64 s0, 4, v93
	v_and_b32_e32 v115, 0xff, v0
	v_lshlrev_b32_e32 v8, 5, v114
	v_sub_nc_u16 v9, v102, v1
	global_load_b128 v[0:3], v[24:25], off
	v_and_b32_e32 v116, 0xff, v4
	v_lshlrev_b32_e32 v16, 5, v115
	global_load_b128 v[4:7], v8, s[4:5]
	v_and_b32_e32 v113, 0xff, v9
	v_mul_lo_u16 v66, 0x89, v66
	v_lshlrev_b32_e32 v32, 5, v116
	s_clause 0x1
	global_load_b128 v[12:15], v16, s[4:5] offset:16
	global_load_b128 v[8:11], v8, s[4:5] offset:16
	v_lshlrev_b32_e32 v36, 5, v113
	s_clause 0x5
	global_load_b128 v[16:19], v16, s[4:5]
	global_load_b128 v[20:23], v32, s[4:5]
	global_load_b128 v[24:27], v[24:25], off offset:16
	global_load_b128 v[28:31], v36, s[4:5]
	global_load_b128 v[32:35], v32, s[4:5] offset:16
	global_load_b128 v[36:39], v36, s[4:5] offset:16
	ds_load_2addr_b64 v[40:43], v104 offset0:45 offset1:54
	ds_load_2addr_b64 v[44:47], v104 offset0:99 offset1:108
	;; [unrolled: 1-line block ×5, first 2 shown]
	v_lshlrev_b32_e32 v114, 3, v114
	v_lshlrev_b32_e32 v115, 3, v115
	;; [unrolled: 1-line block ×3, first 2 shown]
	s_waitcnt vmcnt(9) lgkmcnt(4)
	v_mul_f64 v[78:79], v[40:41], v[2:3]
	v_mul_f64 v[84:85], v[86:87], v[2:3]
	s_waitcnt vmcnt(8)
	v_mul_f64 v[133:134], v[42:43], v[6:7]
	v_mul_f64 v[82:83], v[88:89], v[6:7]
	s_waitcnt vmcnt(5) lgkmcnt(2)
	v_mul_f64 v[139:140], v[52:53], v[18:19]
	v_mul_f64 v[137:138], v[46:47], v[14:15]
	;; [unrolled: 1-line block ×3, first 2 shown]
	s_waitcnt vmcnt(4)
	v_mul_f64 v[141:142], v[54:55], v[22:23]
	s_waitcnt vmcnt(3) lgkmcnt(1)
	v_mul_f64 v[143:144], v[50:51], v[26:27]
	s_waitcnt vmcnt(2)
	v_mul_f64 v[145:146], v[48:49], v[30:31]
	s_waitcnt vmcnt(1) lgkmcnt(0)
	v_mul_f64 v[147:148], v[56:57], v[34:35]
	s_waitcnt vmcnt(0)
	v_mul_f64 v[149:150], v[58:59], v[38:39]
	v_mul_f64 v[26:27], v[62:63], v[26:27]
	;; [unrolled: 1-line block ×6, first 2 shown]
	v_fma_f64 v[80:81], v[86:87], v[0:1], -v[78:79]
	v_mul_f64 v[86:87], v[121:122], v[10:11]
	v_fma_f64 v[0:1], v[40:41], v[0:1], v[84:85]
	v_fma_f64 v[78:79], v[88:89], v[4:5], -v[133:134]
	v_mul_f64 v[88:89], v[123:124], v[14:15]
	v_fma_f64 v[4:5], v[42:43], v[4:5], v[82:83]
	v_fma_f64 v[14:15], v[125:126], v[16:17], -v[139:140]
	v_fma_f64 v[2:3], v[123:124], v[12:13], -v[137:138]
	;; [unrolled: 1-line block ×3, first 2 shown]
	v_mul_f64 v[121:122], v[129:130], v[34:35]
	v_fma_f64 v[10:11], v[127:128], v[20:21], -v[141:142]
	v_fma_f64 v[62:63], v[62:63], v[24:25], -v[143:144]
	;; [unrolled: 1-line block ×5, first 2 shown]
	v_fma_f64 v[24:25], v[50:51], v[24:25], v[26:27]
	v_fma_f64 v[16:17], v[52:53], v[16:17], v[18:19]
	;; [unrolled: 1-line block ×5, first 2 shown]
	v_cndmask_b32_e64 v35, 0, 0x78, s0
	v_lshlrev_b32_e32 v130, 3, v111
	v_lshrrev_b16 v139, 11, v66
	v_and_b32_e32 v43, 0xffff, v112
	v_add_nc_u32_e32 v34, -6, v93
	v_add_nc_u32_e32 v129, 0, v35
	v_mul_lo_u16 v35, 0x89, v120
	v_cmp_gt_u32_e64 s0, 6, v93
	v_mad_u32_u24 v132, 0x78, v43, 0
	v_mov_b32_e32 v128, v67
	v_lshlrev_b32_e32 v66, 1, v93
	v_lshrrev_b16 v41, 11, v35
	v_cndmask_b32_e64 v34, v34, v99, s0
	s_delay_alu instid0(VALU_DEP_2) | instskip(NEXT) | instid1(VALU_DEP_2)
	v_mul_lo_u16 v131, v41, 15
	v_lshlrev_b32_e32 v127, 1, v34
	v_lshlrev_b64 v[41:42], 4, v[66:67]
	v_fma_f64 v[8:9], v[44:45], v[8:9], v[86:87]
	v_and_b32_e32 v44, 0xffff, v117
	v_and_b32_e32 v45, 0xffff, v118
	v_fma_f64 v[12:13], v[46:47], v[12:13], v[88:89]
	v_and_b32_e32 v46, 0xffff, v119
	v_mul_lo_u16 v47, v139, 15
	v_mad_u32_u24 v133, 0x78, v44, 0
	v_add_f64 v[30:31], v[78:79], v[6:7]
	v_fma_f64 v[20:21], v[56:57], v[32:33], v[121:122]
	v_add_f64 v[32:33], v[14:15], v[2:3]
	v_add_f64 v[28:29], v[80:81], v[62:63]
	v_mad_u32_u24 v134, 0x78, v45, 0
	v_add_f64 v[35:36], v[10:11], v[60:61]
	v_add_f64 v[39:40], v[123:124], v[125:126]
	;; [unrolled: 1-line block ×3, first 2 shown]
	v_mad_u32_u24 v135, 0x78, v46, 0
	v_sub_nc_u16 v59, v101, v47
	ds_load_b64 v[43:44], v103
	ds_load_b64 v[45:46], v105
	;; [unrolled: 1-line block ×4, first 2 shown]
	v_add_f64 v[111:112], v[22:23], v[26:27]
	ds_load_b64 v[53:54], v108
	v_lshlrev_b64 v[37:38], 4, v[127:128]
	v_add_f64 v[84:85], v[72:73], v[78:79]
	v_add_f64 v[57:58], v[74:75], v[80:81]
	;; [unrolled: 1-line block ×3, first 2 shown]
	v_add_f64 v[117:118], v[0:1], -v[24:25]
	v_add_f64 v[119:120], v[68:69], v[10:11]
	v_add_co_u32 v37, s0, s4, v37
	s_delay_alu instid0(VALU_DEP_1)
	v_add_co_ci_u32_e64 v38, s0, s5, v38, s0
	v_add_f64 v[78:79], v[78:79], -v[6:7]
	v_add_f64 v[14:15], v[14:15], -v[2:3]
	;; [unrolled: 1-line block ×3, first 2 shown]
	v_add_f64 v[121:122], v[76:77], v[123:124]
	s_waitcnt lgkmcnt(4)
	v_add_f64 v[0:1], v[43:44], v[0:1]
	v_add_nc_u32_e32 v66, 6, v66
	s_waitcnt lgkmcnt(0)
	s_barrier
	v_add_f64 v[55:56], v[4:5], v[8:9]
	buffer_gl0_inv
	v_lshlrev_b32_e32 v34, 3, v34
	v_add_f64 v[82:83], v[16:17], v[12:13]
	v_add_f64 v[127:128], v[16:17], -v[12:13]
	v_add_f64 v[16:17], v[47:48], v[16:17]
	v_fma_f64 v[72:73], v[30:31], -0.5, v[72:73]
	v_add_f64 v[86:87], v[18:19], v[20:21]
	v_add_co_u32 v30, s0, s4, v41
	v_fma_f64 v[28:29], v[28:29], -0.5, v[74:75]
	v_fma_f64 v[32:33], v[32:33], -0.5, v[70:71]
	v_add_f64 v[70:71], v[18:19], -v[20:21]
	v_fma_f64 v[35:36], v[35:36], -0.5, v[68:69]
	v_add_f64 v[68:69], v[22:23], -v[26:27]
	v_fma_f64 v[39:40], v[39:40], -0.5, v[76:77]
	v_add_co_ci_u32_e64 v31, s0, s5, v42, s0
	v_add_f64 v[41:42], v[80:81], -v[62:63]
	v_add_f64 v[22:23], v[53:54], v[22:23]
	v_fma_f64 v[43:44], v[51:52], -0.5, v[43:44]
	v_add_f64 v[74:75], v[4:5], -v[8:9]
	v_add_f64 v[4:5], v[45:46], v[4:5]
	v_add_f64 v[18:19], v[49:50], v[18:19]
	v_add_f64 v[51:52], v[123:124], -v[125:126]
	v_fma_f64 v[53:54], v[111:112], -0.5, v[53:54]
	v_lshlrev_b64 v[76:77], 4, v[66:67]
	v_add_f64 v[6:7], v[84:85], v[6:7]
	v_add_f64 v[2:3], v[88:89], v[2:3]
	v_and_b32_e32 v66, 0xff, v59
	v_add3_u32 v111, v129, v130, v110
	v_add3_u32 v112, v132, v114, v110
	;; [unrolled: 1-line block ×3, first 2 shown]
	v_add_f64 v[24:25], v[0:1], v[24:25]
	v_fma_f64 v[45:46], v[55:56], -0.5, v[45:46]
	v_add_f64 v[55:56], v[57:58], v[62:63]
	v_add_f64 v[57:58], v[119:120], v[60:61]
	v_fma_f64 v[47:48], v[82:83], -0.5, v[47:48]
	v_add_f64 v[59:60], v[121:122], v[125:126]
	v_add_f64 v[84:85], v[16:17], v[12:13]
	v_lshlrev_b32_e32 v63, 3, v113
	v_add3_u32 v113, v133, v115, v110
	v_fma_f64 v[49:50], v[86:87], -0.5, v[49:50]
	v_fma_f64 v[61:62], v[117:118], s[2:3], v[28:29]
	v_fma_f64 v[28:29], v[117:118], s[6:7], v[28:29]
	v_add3_u32 v63, v135, v63, v110
	v_fma_f64 v[82:83], v[70:71], s[2:3], v[35:36]
	v_fma_f64 v[35:36], v[70:71], s[6:7], v[35:36]
	;; [unrolled: 1-line block ×4, first 2 shown]
	v_add_co_u32 v68, s0, s4, v76
	v_add_f64 v[22:23], v[22:23], v[26:27]
	v_fma_f64 v[26:27], v[41:42], s[6:7], v[43:44]
	v_fma_f64 v[41:42], v[41:42], s[2:3], v[43:44]
	v_fma_f64 v[80:81], v[74:75], s[2:3], v[72:73]
	v_add_co_ci_u32_e64 v69, s0, s5, v77, s0
	v_add_f64 v[76:77], v[4:5], v[8:9]
	v_fma_f64 v[72:73], v[74:75], s[6:7], v[72:73]
	v_fma_f64 v[74:75], v[127:128], s[2:3], v[32:33]
	v_fma_f64 v[32:33], v[127:128], s[6:7], v[32:33]
	v_add_f64 v[20:21], v[18:19], v[20:21]
	v_fma_f64 v[88:89], v[51:52], s[6:7], v[53:54]
	v_fma_f64 v[51:52], v[51:52], s[2:3], v[53:54]
	ds_store_2addr_b64 v111, v[55:56], v[61:62] offset1:5
	ds_store_b64 v111, v[28:29] offset:80
	ds_store_2addr_b64 v112, v[6:7], v[80:81] offset1:5
	ds_store_b64 v112, v[72:73] offset:80
	;; [unrolled: 2-line block ×5, first 2 shown]
	v_fma_f64 v[43:44], v[78:79], s[6:7], v[45:46]
	v_fma_f64 v[45:46], v[78:79], s[2:3], v[45:46]
	;; [unrolled: 1-line block ×6, first 2 shown]
	s_waitcnt lgkmcnt(0)
	s_barrier
	buffer_gl0_inv
	ds_load_2addr_b64 v[0:3], v104 offset0:45 offset1:54
	ds_load_2addr_b64 v[4:7], v104 offset0:81 offset1:90
	;; [unrolled: 1-line block ×4, first 2 shown]
	ds_load_b64 v[28:29], v103
	ds_load_b64 v[32:33], v105
	;; [unrolled: 1-line block ×4, first 2 shown]
	ds_load_2addr_b64 v[16:19], v104 offset0:117 offset1:126
	ds_load_b64 v[119:120], v108
	s_waitcnt lgkmcnt(0)
	s_barrier
	buffer_gl0_inv
	ds_store_2addr_b64 v111, v[24:25], v[26:27] offset1:5
	ds_store_b64 v111, v[41:42] offset:80
	ds_store_2addr_b64 v112, v[76:77], v[43:44] offset1:5
	ds_store_b64 v112, v[45:46] offset:80
	ds_store_2addr_b64 v113, v[84:85], v[78:79] offset1:5
	ds_store_b64 v113, v[47:48] offset:80
	ds_store_2addr_b64 v114, v[20:21], v[86:87] offset1:5
	ds_store_b64 v114, v[49:50] offset:80
	ds_store_2addr_b64 v63, v[22:23], v[88:89] offset1:5
	ds_store_b64 v63, v[51:52] offset:80
	v_sub_nc_u16 v51, v102, v131
	v_lshlrev_b32_e32 v55, 5, v66
	s_waitcnt lgkmcnt(0)
	s_barrier
	buffer_gl0_inv
	v_and_b32_e32 v63, 0xff, v51
	s_clause 0x6
	global_load_b128 v[20:23], v[30:31], off offset:160
	global_load_b128 v[24:27], v[37:38], off offset:160
	;; [unrolled: 1-line block ×5, first 2 shown]
	global_load_b128 v[47:50], v55, s[4:5] offset:160
	global_load_b128 v[51:54], v[30:31], off offset:176
	v_cmp_lt_u32_e64 s0, 5, v93
	v_lshlrev_b32_e32 v68, 5, v63
	s_clause 0x2
	global_load_b128 v[55:58], v55, s[4:5] offset:176
	global_load_b128 v[59:62], v68, s[4:5] offset:160
	;; [unrolled: 1-line block ×3, first 2 shown]
	ds_load_2addr_b64 v[72:75], v104 offset0:45 offset1:54
	ds_load_2addr_b64 v[76:79], v104 offset0:99 offset1:108
	;; [unrolled: 1-line block ×5, first 2 shown]
	v_lshlrev_b32_e32 v66, 3, v66
	v_lshl_add_u32 v63, v63, 3, v109
	s_waitcnt vmcnt(7) lgkmcnt(3)
	v_mul_f64 v[123:124], v[76:77], v[37:38]
	v_mul_f64 v[88:89], v[72:73], v[22:23]
	;; [unrolled: 1-line block ×3, first 2 shown]
	s_waitcnt vmcnt(6)
	v_mul_f64 v[125:126], v[78:79], v[41:42]
	s_waitcnt vmcnt(3) lgkmcnt(1)
	v_mul_f64 v[131:132], v[86:87], v[53:54]
	v_mul_f64 v[127:128], v[80:81], v[45:46]
	;; [unrolled: 1-line block ×4, first 2 shown]
	s_waitcnt vmcnt(2) lgkmcnt(0)
	v_mul_f64 v[133:134], v[111:112], v[57:58]
	s_waitcnt vmcnt(1)
	v_mul_f64 v[135:136], v[84:85], v[61:62]
	s_waitcnt vmcnt(0)
	v_mul_f64 v[137:138], v[113:114], v[70:71]
	v_mul_f64 v[53:54], v[6:7], v[53:54]
	;; [unrolled: 1-line block ×10, first 2 shown]
	v_fma_f64 v[8:9], v[8:9], v[35:36], -v[123:124]
	v_fma_f64 v[0:1], v[0:1], v[20:21], -v[88:89]
	;; [unrolled: 1-line block ×7, first 2 shown]
	v_fma_f64 v[20:21], v[72:73], v[20:21], v[22:23]
	v_fma_f64 v[16:17], v[16:17], v[55:56], -v[133:134]
	v_fma_f64 v[4:5], v[4:5], v[59:60], -v[135:136]
	v_fma_f64 v[18:19], v[18:19], v[68:69], -v[137:138]
	v_fma_f64 v[22:23], v[86:87], v[51:52], v[53:54]
	v_fma_f64 v[24:25], v[74:75], v[24:25], v[26:27]
	;; [unrolled: 1-line block ×9, first 2 shown]
	ds_load_b64 v[57:58], v103
	ds_load_b64 v[59:60], v105
	ds_load_b64 v[61:62], v106
	ds_load_b64 v[68:69], v107
	ds_load_b64 v[70:71], v108
	s_waitcnt lgkmcnt(0)
	s_barrier
	buffer_gl0_inv
	v_add_f64 v[72:73], v[28:29], v[0:1]
	v_add_f64 v[49:50], v[2:3], v[8:9]
	;; [unrolled: 1-line block ×11, first 2 shown]
	v_add_f64 v[113:114], v[20:21], -v[22:23]
	v_add_f64 v[78:79], v[24:25], v[26:27]
	v_add_f64 v[0:1], v[0:1], -v[6:7]
	v_add_f64 v[82:83], v[37:38], v[35:36]
	v_add_f64 v[20:21], v[57:58], v[20:21]
	;; [unrolled: 1-line block ×3, first 2 shown]
	v_add_f64 v[2:3], v[2:3], -v[8:9]
	v_add_f64 v[111:112], v[43:44], v[45:46]
	v_add_f64 v[12:13], v[12:13], -v[10:11]
	v_add_f64 v[14:15], v[14:15], -v[16:17]
	;; [unrolled: 1-line block ×3, first 2 shown]
	v_add_f64 v[6:7], v[72:73], v[6:7]
	v_fma_f64 v[32:33], v[49:50], -0.5, v[32:33]
	v_add_f64 v[49:50], v[37:38], -v[35:36]
	v_fma_f64 v[28:29], v[47:48], -0.5, v[28:29]
	v_add_f64 v[47:48], v[24:25], -v[26:27]
	;; [unrolled: 2-line block ×4, first 2 shown]
	v_fma_f64 v[55:56], v[55:56], -0.5, v[119:120]
	v_add_f64 v[37:38], v[61:62], v[37:38]
	v_add_f64 v[39:40], v[68:69], v[39:40]
	v_fma_f64 v[57:58], v[74:75], -0.5, v[57:58]
	v_add_f64 v[43:44], v[70:71], v[43:44]
	v_add_f64 v[24:25], v[59:60], v[24:25]
	v_fma_f64 v[59:60], v[78:79], -0.5, v[59:60]
	v_fma_f64 v[61:62], v[82:83], -0.5, v[61:62]
	;; [unrolled: 1-line block ×4, first 2 shown]
	v_add_f64 v[8:9], v[76:77], v[8:9]
	v_add_f64 v[10:11], v[80:81], v[10:11]
	;; [unrolled: 1-line block ×4, first 2 shown]
	v_cndmask_b32_e64 v119, 0, 0x168, s0
	v_and_b32_e32 v120, 0xffff, v139
	s_delay_alu instid0(VALU_DEP_2) | instskip(NEXT) | instid1(VALU_DEP_2)
	v_add_nc_u32_e32 v78, 0, v119
	v_mad_u32_u24 v79, 0x168, v120, 0
	s_delay_alu instid0(VALU_DEP_2) | instskip(NEXT) | instid1(VALU_DEP_2)
	v_add3_u32 v86, v78, v34, v110
	v_add3_u32 v66, v79, v66, v110
	v_add_f64 v[78:79], v[20:21], v[22:23]
	v_fma_f64 v[72:73], v[113:114], s[2:3], v[28:29]
	v_fma_f64 v[28:29], v[113:114], s[6:7], v[28:29]
	;; [unrolled: 1-line block ×10, first 2 shown]
	v_add_f64 v[34:35], v[37:38], v[35:36]
	v_add_f64 v[36:37], v[39:40], v[41:42]
	v_fma_f64 v[40:41], v[0:1], s[6:7], v[57:58]
	v_add_f64 v[38:39], v[43:44], v[45:46]
	v_fma_f64 v[42:43], v[0:1], s[2:3], v[57:58]
	v_add_f64 v[80:81], v[24:25], v[26:27]
	v_fma_f64 v[44:45], v[2:3], s[6:7], v[59:60]
	v_fma_f64 v[57:58], v[2:3], s[2:3], v[59:60]
	v_fma_f64 v[59:60], v[12:13], s[6:7], v[61:62]
	;; [unrolled: 1-line block ×7, first 2 shown]
	ds_store_2addr_b64 v104, v[6:7], v[72:73] offset1:15
	ds_store_b64 v104, v[28:29] offset:240
	ds_store_2addr_b64 v86, v[8:9], v[74:75] offset1:15
	ds_store_b64 v86, v[32:33] offset:240
	ds_store_2addr_b64 v104, v[10:11], v[47:48] offset0:48 offset1:63
	ds_store_b64 v104, v[49:50] offset:624
	ds_store_2addr_b64 v66, v[16:17], v[51:52] offset1:15
	ds_store_b64 v66, v[53:54] offset:240
	ds_store_2addr_b64 v63, v[18:19], v[76:77] offset0:90 offset1:105
	ds_store_b64 v63, v[55:56] offset:960
	s_waitcnt lgkmcnt(0)
	s_barrier
	buffer_gl0_inv
	ds_load_2addr_b64 v[4:7], v104 offset0:45 offset1:54
	ds_load_2addr_b64 v[16:19], v104 offset0:81 offset1:90
	ds_load_2addr_b64 v[0:3], v104 offset0:99 offset1:108
	ds_load_2addr_b64 v[8:11], v104 offset0:63 offset1:72
	ds_load_b64 v[28:29], v103
	ds_load_b64 v[24:25], v105
	ds_load_b64 v[22:23], v106
	ds_load_b64 v[20:21], v107
	ds_load_2addr_b64 v[12:15], v104 offset0:117 offset1:126
	ds_load_b64 v[26:27], v108
	s_waitcnt lgkmcnt(0)
	s_barrier
	buffer_gl0_inv
	ds_store_2addr_b64 v104, v[78:79], v[40:41] offset1:15
	ds_store_b64 v104, v[42:43] offset:240
	ds_store_2addr_b64 v86, v[80:81], v[44:45] offset1:15
	ds_store_b64 v86, v[57:58] offset:240
	ds_store_2addr_b64 v104, v[34:35], v[59:60] offset0:48 offset1:63
	ds_store_b64 v104, v[61:62] offset:624
	ds_store_2addr_b64 v66, v[36:37], v[82:83] offset1:15
	ds_store_b64 v66, v[68:69] offset:240
	ds_store_2addr_b64 v63, v[38:39], v[84:85] offset0:90 offset1:105
	ds_store_b64 v63, v[70:71] offset:960
	s_waitcnt lgkmcnt(0)
	s_barrier
	buffer_gl0_inv
	s_and_saveexec_b32 s0, vcc_lo
	s_cbranch_execz .LBB0_14
; %bb.13:
	v_mad_u64_u32 v[113:114], null, s8, v93, 0
	v_lshlrev_b32_e32 v66, 1, v102
	global_load_b128 v[32:35], v[30:31], off offset:656
	v_mad_u64_u32 v[115:116], null, s8, v97, 0
	v_mad_u64_u32 v[117:118], null, s8, v94, 0
	v_lshlrev_b64 v[36:37], 4, v[66:67]
	v_lshlrev_b32_e32 v66, 1, v101
	v_mad_u64_u32 v[119:120], null, s8, v96, 0
	v_mul_hi_u32 v128, 0x6c16c16d, v91
	v_mul_hi_u32 v127, 0x6c16c16d, v90
	s_delay_alu instid0(VALU_DEP_4) | instskip(SKIP_3) | instid1(VALU_DEP_3)
	v_lshlrev_b64 v[40:41], 4, v[66:67]
	v_lshlrev_b32_e32 v66, 1, v100
	v_add_co_u32 v44, vcc_lo, s4, v36
	v_add_co_ci_u32_e32 v45, vcc_lo, s5, v37, vcc_lo
	v_lshlrev_b64 v[52:53], 4, v[66:67]
	v_lshlrev_b32_e32 v66, 1, v99
	v_add_co_u32 v54, vcc_lo, s4, v40
	global_load_b128 v[36:39], v[44:45], off offset:640
	v_add_co_ci_u32_e32 v55, vcc_lo, s5, v41, vcc_lo
	s_clause 0x1
	global_load_b128 v[40:43], v[30:31], off offset:640
	global_load_b128 v[44:47], v[44:45], off offset:656
	v_lshlrev_b64 v[30:31], 4, v[66:67]
	v_add_co_u32 v60, vcc_lo, s4, v52
	v_add_co_ci_u32_e32 v61, vcc_lo, s5, v53, vcc_lo
	global_load_b128 v[48:51], v[54:55], off offset:656
	v_add_co_u32 v30, vcc_lo, s4, v30
	v_add_co_ci_u32_e32 v31, vcc_lo, s5, v31, vcc_lo
	s_clause 0x4
	global_load_b128 v[52:55], v[54:55], off offset:640
	global_load_b128 v[56:59], v[60:61], off offset:640
	;; [unrolled: 1-line block ×5, first 2 shown]
	ds_load_2addr_b64 v[74:77], v104 offset0:81 offset1:90
	ds_load_2addr_b64 v[78:81], v104 offset0:117 offset1:126
	ds_load_b64 v[30:31], v108
	ds_load_2addr_b64 v[82:85], v104 offset0:63 offset1:72
	ds_load_2addr_b64 v[86:89], v104 offset0:99 offset1:108
	;; [unrolled: 1-line block ×3, first 2 shown]
	ds_load_b64 v[107:108], v107
	ds_load_b64 v[109:110], v106
	;; [unrolled: 1-line block ×4, first 2 shown]
	v_add_co_u32 v141, vcc_lo, s10, v64
	v_mad_u64_u32 v[121:122], null, s8, v95, 0
	v_add_co_ci_u32_e32 v142, vcc_lo, s11, v65, vcc_lo
	v_mad_u64_u32 v[64:65], null, s8, v98, 0
	v_mov_b32_e32 v103, v114
	v_mul_hi_u32 v129, 0x6c16c16d, v92
	v_mov_b32_e32 v106, v116
	v_mov_b32_e32 v114, v118
	;; [unrolled: 1-line block ×3, first 2 shown]
	v_sub_nc_u32_e32 v126, v91, v128
	v_sub_nc_u32_e32 v120, v90, v127
	v_mov_b32_e32 v118, v122
	v_sub_nc_u32_e32 v130, v92, v129
	s_waitcnt lgkmcnt(1)
	v_mad_u64_u32 v[122:123], null, s9, v93, v[103:104]
	s_waitcnt vmcnt(3)
	v_mul_f64 v[133:134], v[8:9], v[58:59]
	s_waitcnt vmcnt(2)
	v_mul_f64 v[135:136], v[2:3], v[62:63]
	s_waitcnt vmcnt(1)
	v_mad_u64_u32 v[123:124], null, s9, v98, v[65:66]
	v_mad_u64_u32 v[124:125], null, s9, v97, v[106:107]
	;; [unrolled: 1-line block ×4, first 2 shown]
	v_lshrrev_b32_e32 v94, 1, v126
	v_lshrrev_b32_e32 v65, 1, v120
	v_mov_b32_e32 v114, v122
	v_lshrrev_b32_e32 v96, 1, v130
	v_mad_u64_u32 v[125:126], null, s9, v95, v[118:119]
	v_add_nc_u32_e32 v94, v94, v128
	v_add_nc_u32_e32 v95, v65, v127
	v_dual_mov_b32 v65, v123 :: v_dual_mov_b32 v120, v93
	v_add_nc_u32_e32 v96, v96, v129
	s_delay_alu instid0(VALU_DEP_4)
	v_lshrrev_b32_e32 v106, 5, v94
	v_lshlrev_b64 v[93:94], 4, v[113:114]
	v_mov_b32_e32 v116, v124
	v_lshrrev_b32_e32 v103, 5, v95
	v_lshlrev_b64 v[64:65], 4, v[64:65]
	v_lshrrev_b32_e32 v123, 5, v96
	v_mad_u32_u24 v106, 0x5a, v106, v91
	v_lshlrev_b64 v[95:96], 4, v[115:116]
	v_mad_u32_u24 v103, 0x5a, v103, v90
	v_add_co_u32 v90, vcc_lo, v141, v93
	v_add_co_ci_u32_e32 v91, vcc_lo, v142, v94, vcc_lo
	v_add_co_u32 v64, vcc_lo, v141, v64
	v_add_co_ci_u32_e32 v65, vcc_lo, v142, v65, vcc_lo
	v_mad_u32_u24 v143, 0x5a, v123, v92
	v_add_co_u32 v92, vcc_lo, v141, v95
	v_mul_f64 v[94:95], v[76:77], v[34:35]
	v_mul_f64 v[34:35], v[18:19], v[34:35]
	v_mov_b32_e32 v122, v125
	v_mul_f64 v[125:126], v[14:15], v[46:47]
	v_mul_f64 v[46:47], v[80:81], v[46:47]
	v_mov_b32_e32 v118, v97
	v_mul_f64 v[127:128], v[12:13], v[50:51]
	v_lshlrev_b64 v[115:116], 4, v[121:122]
	v_mul_f64 v[121:122], v[99:100], v[42:43]
	v_mul_f64 v[42:43], v[4:5], v[42:43]
	;; [unrolled: 1-line block ×5, first 2 shown]
	s_waitcnt vmcnt(0)
	v_mul_f64 v[139:140], v[0:1], v[72:73]
	v_mul_f64 v[72:73], v[86:87], v[72:73]
	v_lshlrev_b64 v[97:98], 4, v[117:118]
	v_mul_f64 v[117:118], v[74:75], v[38:39]
	v_mul_f64 v[38:39], v[16:17], v[38:39]
	;; [unrolled: 1-line block ×4, first 2 shown]
	v_mad_u64_u32 v[129:130], null, s8, v143, 0
	v_add_nc_u32_e32 v146, 45, v106
	v_add_nc_u32_e32 v147, 0x5a, v106
	;; [unrolled: 1-line block ×6, first 2 shown]
	v_mad_u64_u32 v[123:124], null, s8, v106, 0
	v_add_co_ci_u32_e32 v93, vcc_lo, v142, v96, vcc_lo
	v_add_co_u32 v96, vcc_lo, v141, v97
	v_add_co_ci_u32_e32 v97, vcc_lo, v142, v98, vcc_lo
	v_fma_f64 v[18:19], v[18:19], v[32:33], -v[94:95]
	v_fma_f64 v[32:33], v[32:33], v[76:77], v[34:35]
	v_mul_f64 v[34:35], v[82:83], v[58:59]
	v_mul_f64 v[58:59], v[88:89], v[62:63]
	v_fma_f64 v[14:15], v[14:15], v[44:45], -v[46:47]
	v_fma_f64 v[82:83], v[56:57], v[82:83], v[133:134]
	v_fma_f64 v[78:79], v[48:49], v[78:79], v[127:128]
	;; [unrolled: 1-line block ×3, first 2 shown]
	v_fma_f64 v[4:5], v[4:5], v[40:41], -v[121:122]
	v_fma_f64 v[40:41], v[40:41], v[99:100], v[42:43]
	v_fma_f64 v[84:85], v[52:53], v[84:85], v[131:132]
	v_fma_f64 v[6:7], v[6:7], v[66:67], -v[137:138]
	v_fma_f64 v[68:69], v[66:67], v[101:102], v[68:69]
	v_fma_f64 v[86:87], v[70:71], v[86:87], v[139:140]
	v_fma_f64 v[66:67], v[0:1], v[70:71], -v[72:73]
	v_fma_f64 v[80:81], v[44:45], v[80:81], v[125:126]
	v_fma_f64 v[16:17], v[16:17], v[36:37], -v[117:118]
	v_fma_f64 v[36:37], v[36:37], v[74:75], v[38:39]
	v_mad_u64_u32 v[74:75], null, s8, v146, 0
	v_mad_u64_u32 v[76:77], null, s8, v147, 0
	;; [unrolled: 1-line block ×3, first 2 shown]
	v_mov_b32_e32 v100, v130
	v_mad_u64_u32 v[62:63], null, s8, v144, 0
	v_mad_u64_u32 v[38:39], null, s8, v145, 0
	;; [unrolled: 1-line block ×3, first 2 shown]
	v_mov_b32_e32 v99, v124
	s_delay_alu instid0(VALU_DEP_4) | instskip(NEXT) | instid1(VALU_DEP_2)
	v_mad_u64_u32 v[44:45], null, s9, v144, v[63:64]
	v_mad_u64_u32 v[121:122], null, s9, v106, v[99:100]
	v_fma_f64 v[0:1], v[8:9], v[56:57], -v[34:35]
	v_fma_f64 v[34:35], v[2:3], v[60:61], -v[58:59]
	;; [unrolled: 1-line block ×4, first 2 shown]
	v_mad_u64_u32 v[12:13], null, s9, v143, v[100:101]
	v_dual_mov_b32 v10, v75 :: v_dual_mov_b32 v11, v77
	v_mov_b32_e32 v13, v95
	v_mad_u64_u32 v[45:46], null, s9, v145, v[39:40]
	v_add_f64 v[51:52], v[4:5], v[18:19]
	s_delay_alu instid0(VALU_DEP_4)
	v_mad_u64_u32 v[46:47], null, s9, v146, v[10:11]
	v_mad_u64_u32 v[47:48], null, s9, v147, v[11:12]
	;; [unrolled: 1-line block ×4, first 2 shown]
	v_add_f64 v[49:50], v[40:41], v[32:33]
	v_add_f64 v[55:56], v[84:85], v[78:79]
	v_mov_b32_e32 v77, v47
	v_add_f64 v[57:58], v[82:83], v[88:89]
	v_mov_b32_e32 v95, v10
	v_lshlrev_b64 v[113:114], 4, v[119:120]
	v_mad_u64_u32 v[119:120], null, s8, v103, 0
	v_add_f64 v[59:60], v[68:69], v[86:87]
	v_add_f64 v[70:71], v[6:7], v[66:67]
	v_mov_b32_e32 v63, v44
	v_mov_b32_e32 v39, v45
	v_add_f64 v[44:45], v[36:37], v[80:81]
	v_mov_b32_e32 v43, v48
	v_mov_b32_e32 v98, v120
	;; [unrolled: 1-line block ×4, first 2 shown]
	v_add_f64 v[131:132], v[68:69], v[104:105]
	v_add_f64 v[133:134], v[24:25], v[6:7]
	;; [unrolled: 1-line block ×3, first 2 shown]
	v_mad_u64_u32 v[117:118], null, s9, v103, v[98:99]
	v_add_f64 v[98:99], v[16:17], v[14:15]
	v_add_f64 v[100:101], v[2:3], v[8:9]
	v_lshlrev_b64 v[102:103], 4, v[38:39]
	v_add_f64 v[38:39], v[4:5], -v[18:19]
	v_add_f64 v[4:5], v[28:29], v[4:5]
	v_lshlrev_b64 v[53:54], 4, v[123:124]
	v_mov_b32_e32 v120, v117
	v_lshlrev_b64 v[117:118], 4, v[42:43]
	s_waitcnt lgkmcnt(0)
	v_add_f64 v[42:43], v[40:41], v[111:112]
	v_add_f64 v[40:41], v[40:41], -v[32:33]
	v_fma_f64 v[28:29], v[51:52], -0.5, v[28:29]
	v_lshlrev_b64 v[11:12], 4, v[119:120]
	v_add_f64 v[119:120], v[16:17], -v[14:15]
	v_add_f64 v[16:17], v[26:27], v[16:17]
	v_add_f64 v[121:122], v[36:37], v[30:31]
	v_add_f64 v[123:124], v[36:37], -v[80:81]
	v_fma_f64 v[48:49], v[49:50], -0.5, v[111:112]
	v_add_f64 v[36:37], v[84:85], v[107:108]
	v_add_f64 v[50:51], v[6:7], -v[66:67]
	v_fma_f64 v[106:107], v[55:56], -0.5, v[107:108]
	v_fma_f64 v[55:56], v[57:58], -0.5, v[109:110]
	v_mov_b32_e32 v75, v46
	v_lshlrev_b64 v[46:47], 4, v[129:130]
	v_add_f64 v[129:130], v[22:23], v[0:1]
	v_fma_f64 v[57:58], v[59:60], -0.5, v[104:105]
	v_add_f64 v[59:60], v[68:69], -v[86:87]
	v_fma_f64 v[68:69], v[70:71], -0.5, v[24:25]
	v_add_f64 v[127:128], v[82:83], v[109:110]
	v_fma_f64 v[44:45], v[44:45], -0.5, v[30:31]
	v_add_f64 v[135:136], v[0:1], -v[34:35]
	v_add_f64 v[82:83], v[82:83], -v[88:89]
	v_add_f64 v[125:126], v[20:21], v[2:3]
	v_add_f64 v[111:112], v[2:3], -v[8:9]
	v_add_f64 v[70:71], v[84:85], -v[78:79]
	v_add_co_u32 v113, vcc_lo, v141, v113
	v_fma_f64 v[72:73], v[72:73], -0.5, v[22:23]
	v_add_co_ci_u32_e32 v114, vcc_lo, v142, v114, vcc_lo
	v_fma_f64 v[84:85], v[98:99], -0.5, v[26:27]
	v_fma_f64 v[98:99], v[100:101], -0.5, v[20:21]
	v_add_co_u32 v115, vcc_lo, v141, v115
	v_add_co_ci_u32_e32 v116, vcc_lo, v142, v116, vcc_lo
	v_add_co_u32 v100, vcc_lo, v141, v11
	v_add_co_ci_u32_e32 v101, vcc_lo, v142, v12, vcc_lo
	v_add_co_u32 v104, vcc_lo, v141, v53
	v_add_f64 v[2:3], v[42:43], v[32:33]
	v_add_f64 v[0:1], v[4:5], v[18:19]
	v_add_co_ci_u32_e32 v105, vcc_lo, v142, v54, vcc_lo
	v_fma_f64 v[26:27], v[38:39], s[6:7], v[48:49]
	v_fma_f64 v[24:25], v[40:41], s[2:3], v[28:29]
	v_add_co_u32 v108, vcc_lo, v141, v46
	v_fma_f64 v[22:23], v[38:39], s[2:3], v[48:49]
	v_fma_f64 v[20:21], v[40:41], s[6:7], v[28:29]
	v_add_f64 v[4:5], v[16:17], v[14:15]
	v_add_f64 v[18:19], v[86:87], v[131:132]
	;; [unrolled: 1-line block ×3, first 2 shown]
	v_add_co_ci_u32_e32 v109, vcc_lo, v142, v47, vcc_lo
	v_fma_f64 v[46:47], v[50:51], s[2:3], v[57:58]
	v_fma_f64 v[50:51], v[50:51], s[6:7], v[57:58]
	;; [unrolled: 1-line block ×3, first 2 shown]
	v_add_f64 v[12:13], v[129:130], v[34:35]
	v_fma_f64 v[30:31], v[119:120], s[2:3], v[44:45]
	v_fma_f64 v[34:35], v[119:120], s[6:7], v[44:45]
	;; [unrolled: 1-line block ×3, first 2 shown]
	v_add_f64 v[14:15], v[88:89], v[127:128]
	v_fma_f64 v[42:43], v[135:136], s[2:3], v[55:56]
	v_fma_f64 v[54:55], v[135:136], s[6:7], v[55:56]
	;; [unrolled: 1-line block ×4, first 2 shown]
	v_add_f64 v[10:11], v[78:79], v[36:37]
	v_add_f64 v[8:9], v[125:126], v[8:9]
	v_fma_f64 v[58:59], v[111:112], s[6:7], v[106:107]
	v_fma_f64 v[56:57], v[70:71], s[2:3], v[98:99]
	;; [unrolled: 1-line block ×4, first 2 shown]
	v_add_f64 v[6:7], v[80:81], v[121:122]
	v_fma_f64 v[32:33], v[123:124], s[2:3], v[84:85]
	v_fma_f64 v[28:29], v[123:124], s[6:7], v[84:85]
	v_lshlrev_b64 v[61:62], 4, v[62:63]
	v_lshlrev_b64 v[74:75], 4, v[74:75]
	;; [unrolled: 1-line block ×4, first 2 shown]
	s_delay_alu instid0(VALU_DEP_4)
	v_add_co_u32 v60, vcc_lo, v141, v61
	v_add_co_ci_u32_e32 v61, vcc_lo, v142, v62, vcc_lo
	v_add_co_u32 v62, vcc_lo, v141, v102
	v_add_co_ci_u32_e32 v63, vcc_lo, v142, v103, vcc_lo
	v_add_co_u32 v66, vcc_lo, v141, v74
	v_add_co_ci_u32_e32 v67, vcc_lo, v142, v75, vcc_lo
	v_add_co_u32 v68, vcc_lo, v141, v76
	v_add_co_ci_u32_e32 v69, vcc_lo, v142, v77, vcc_lo
	v_add_co_u32 v70, vcc_lo, v141, v94
	v_add_co_ci_u32_e32 v71, vcc_lo, v142, v95, vcc_lo
	v_add_co_u32 v72, vcc_lo, v141, v117
	v_add_co_ci_u32_e32 v73, vcc_lo, v142, v118, vcc_lo
	s_clause 0xe
	global_store_b128 v[90:91], v[0:3], off
	global_store_b128 v[64:65], v[24:27], off
	;; [unrolled: 1-line block ×15, first 2 shown]
.LBB0_14:
	s_nop 0
	s_sendmsg sendmsg(MSG_DEALLOC_VGPRS)
	s_endpgm
	.section	.rodata,"a",@progbits
	.p2align	6, 0x0
	.amdhsa_kernel fft_rtc_fwd_len135_factors_5_3_3_3_wgs_126_tpt_9_halfLds_dp_ip_CI_sbrr_dirReg
		.amdhsa_group_segment_fixed_size 0
		.amdhsa_private_segment_fixed_size 0
		.amdhsa_kernarg_size 88
		.amdhsa_user_sgpr_count 15
		.amdhsa_user_sgpr_dispatch_ptr 0
		.amdhsa_user_sgpr_queue_ptr 0
		.amdhsa_user_sgpr_kernarg_segment_ptr 1
		.amdhsa_user_sgpr_dispatch_id 0
		.amdhsa_user_sgpr_private_segment_size 0
		.amdhsa_wavefront_size32 1
		.amdhsa_uses_dynamic_stack 0
		.amdhsa_enable_private_segment 0
		.amdhsa_system_sgpr_workgroup_id_x 1
		.amdhsa_system_sgpr_workgroup_id_y 0
		.amdhsa_system_sgpr_workgroup_id_z 0
		.amdhsa_system_sgpr_workgroup_info 0
		.amdhsa_system_vgpr_workitem_id 0
		.amdhsa_next_free_vgpr 151
		.amdhsa_next_free_sgpr 23
		.amdhsa_reserve_vcc 1
		.amdhsa_float_round_mode_32 0
		.amdhsa_float_round_mode_16_64 0
		.amdhsa_float_denorm_mode_32 3
		.amdhsa_float_denorm_mode_16_64 3
		.amdhsa_dx10_clamp 1
		.amdhsa_ieee_mode 1
		.amdhsa_fp16_overflow 0
		.amdhsa_workgroup_processor_mode 1
		.amdhsa_memory_ordered 1
		.amdhsa_forward_progress 0
		.amdhsa_shared_vgpr_count 0
		.amdhsa_exception_fp_ieee_invalid_op 0
		.amdhsa_exception_fp_denorm_src 0
		.amdhsa_exception_fp_ieee_div_zero 0
		.amdhsa_exception_fp_ieee_overflow 0
		.amdhsa_exception_fp_ieee_underflow 0
		.amdhsa_exception_fp_ieee_inexact 0
		.amdhsa_exception_int_div_zero 0
	.end_amdhsa_kernel
	.text
.Lfunc_end0:
	.size	fft_rtc_fwd_len135_factors_5_3_3_3_wgs_126_tpt_9_halfLds_dp_ip_CI_sbrr_dirReg, .Lfunc_end0-fft_rtc_fwd_len135_factors_5_3_3_3_wgs_126_tpt_9_halfLds_dp_ip_CI_sbrr_dirReg
                                        ; -- End function
	.section	.AMDGPU.csdata,"",@progbits
; Kernel info:
; codeLenInByte = 9940
; NumSgprs: 25
; NumVgprs: 151
; ScratchSize: 0
; MemoryBound: 1
; FloatMode: 240
; IeeeMode: 1
; LDSByteSize: 0 bytes/workgroup (compile time only)
; SGPRBlocks: 3
; VGPRBlocks: 18
; NumSGPRsForWavesPerEU: 25
; NumVGPRsForWavesPerEU: 151
; Occupancy: 9
; WaveLimiterHint : 1
; COMPUTE_PGM_RSRC2:SCRATCH_EN: 0
; COMPUTE_PGM_RSRC2:USER_SGPR: 15
; COMPUTE_PGM_RSRC2:TRAP_HANDLER: 0
; COMPUTE_PGM_RSRC2:TGID_X_EN: 1
; COMPUTE_PGM_RSRC2:TGID_Y_EN: 0
; COMPUTE_PGM_RSRC2:TGID_Z_EN: 0
; COMPUTE_PGM_RSRC2:TIDIG_COMP_CNT: 0
	.text
	.p2alignl 7, 3214868480
	.fill 96, 4, 3214868480
	.type	__hip_cuid_ba00884d0cfb15ee,@object ; @__hip_cuid_ba00884d0cfb15ee
	.section	.bss,"aw",@nobits
	.globl	__hip_cuid_ba00884d0cfb15ee
__hip_cuid_ba00884d0cfb15ee:
	.byte	0                               ; 0x0
	.size	__hip_cuid_ba00884d0cfb15ee, 1

	.ident	"AMD clang version 19.0.0git (https://github.com/RadeonOpenCompute/llvm-project roc-6.4.0 25133 c7fe45cf4b819c5991fe208aaa96edf142730f1d)"
	.section	".note.GNU-stack","",@progbits
	.addrsig
	.addrsig_sym __hip_cuid_ba00884d0cfb15ee
	.amdgpu_metadata
---
amdhsa.kernels:
  - .args:
      - .actual_access:  read_only
        .address_space:  global
        .offset:         0
        .size:           8
        .value_kind:     global_buffer
      - .offset:         8
        .size:           8
        .value_kind:     by_value
      - .actual_access:  read_only
        .address_space:  global
        .offset:         16
        .size:           8
        .value_kind:     global_buffer
      - .actual_access:  read_only
        .address_space:  global
        .offset:         24
        .size:           8
        .value_kind:     global_buffer
      - .offset:         32
        .size:           8
        .value_kind:     by_value
      - .actual_access:  read_only
        .address_space:  global
        .offset:         40
        .size:           8
        .value_kind:     global_buffer
      - .actual_access:  read_only
        .address_space:  global
        .offset:         48
        .size:           8
        .value_kind:     global_buffer
      - .offset:         56
        .size:           4
        .value_kind:     by_value
      - .actual_access:  read_only
        .address_space:  global
        .offset:         64
        .size:           8
        .value_kind:     global_buffer
      - .actual_access:  read_only
        .address_space:  global
        .offset:         72
        .size:           8
        .value_kind:     global_buffer
      - .address_space:  global
        .offset:         80
        .size:           8
        .value_kind:     global_buffer
    .group_segment_fixed_size: 0
    .kernarg_segment_align: 8
    .kernarg_segment_size: 88
    .language:       OpenCL C
    .language_version:
      - 2
      - 0
    .max_flat_workgroup_size: 126
    .name:           fft_rtc_fwd_len135_factors_5_3_3_3_wgs_126_tpt_9_halfLds_dp_ip_CI_sbrr_dirReg
    .private_segment_fixed_size: 0
    .sgpr_count:     25
    .sgpr_spill_count: 0
    .symbol:         fft_rtc_fwd_len135_factors_5_3_3_3_wgs_126_tpt_9_halfLds_dp_ip_CI_sbrr_dirReg.kd
    .uniform_work_group_size: 1
    .uses_dynamic_stack: false
    .vgpr_count:     151
    .vgpr_spill_count: 0
    .wavefront_size: 32
    .workgroup_processor_mode: 1
amdhsa.target:   amdgcn-amd-amdhsa--gfx1100
amdhsa.version:
  - 1
  - 2
...

	.end_amdgpu_metadata
